;; amdgpu-corpus repo=ROCm/rocFFT kind=compiled arch=gfx906 opt=O3
	.text
	.amdgcn_target "amdgcn-amd-amdhsa--gfx906"
	.amdhsa_code_object_version 6
	.protected	fft_rtc_back_len192_factors_6_4_4_2_wgs_128_tpt_16_halfLds_sp_ip_CI_unitstride_sbrr_dirReg ; -- Begin function fft_rtc_back_len192_factors_6_4_4_2_wgs_128_tpt_16_halfLds_sp_ip_CI_unitstride_sbrr_dirReg
	.globl	fft_rtc_back_len192_factors_6_4_4_2_wgs_128_tpt_16_halfLds_sp_ip_CI_unitstride_sbrr_dirReg
	.p2align	8
	.type	fft_rtc_back_len192_factors_6_4_4_2_wgs_128_tpt_16_halfLds_sp_ip_CI_unitstride_sbrr_dirReg,@function
fft_rtc_back_len192_factors_6_4_4_2_wgs_128_tpt_16_halfLds_sp_ip_CI_unitstride_sbrr_dirReg: ; @fft_rtc_back_len192_factors_6_4_4_2_wgs_128_tpt_16_halfLds_sp_ip_CI_unitstride_sbrr_dirReg
; %bb.0:
	s_load_dwordx2 s[2:3], s[4:5], 0x50
	s_load_dwordx4 s[8:11], s[4:5], 0x0
	s_load_dwordx2 s[12:13], s[4:5], 0x18
	v_lshrrev_b32_e32 v33, 4, v0
	v_mov_b32_e32 v3, 0
	v_mov_b32_e32 v1, 0
	s_waitcnt lgkmcnt(0)
	v_cmp_lt_u64_e64 s[0:1], s[10:11], 2
	v_lshl_or_b32 v5, s6, 3, v33
	v_mov_b32_e32 v6, v3
	s_and_b64 vcc, exec, s[0:1]
	v_mov_b32_e32 v2, 0
	s_cbranch_vccnz .LBB0_8
; %bb.1:
	s_load_dwordx2 s[0:1], s[4:5], 0x10
	s_add_u32 s6, s12, 8
	s_addc_u32 s7, s13, 0
	v_mov_b32_e32 v1, 0
	v_mov_b32_e32 v2, 0
	s_waitcnt lgkmcnt(0)
	s_add_u32 s14, s0, 8
	s_addc_u32 s15, s1, 0
	s_mov_b64 s[16:17], 1
.LBB0_2:                                ; =>This Inner Loop Header: Depth=1
	s_load_dwordx2 s[18:19], s[14:15], 0x0
                                        ; implicit-def: $vgpr7_vgpr8
	s_waitcnt lgkmcnt(0)
	v_or_b32_e32 v4, s19, v6
	v_cmp_ne_u64_e32 vcc, 0, v[3:4]
	s_and_saveexec_b64 s[0:1], vcc
	s_xor_b64 s[20:21], exec, s[0:1]
	s_cbranch_execz .LBB0_4
; %bb.3:                                ;   in Loop: Header=BB0_2 Depth=1
	v_cvt_f32_u32_e32 v4, s18
	v_cvt_f32_u32_e32 v7, s19
	s_sub_u32 s0, 0, s18
	s_subb_u32 s1, 0, s19
	v_mac_f32_e32 v4, 0x4f800000, v7
	v_rcp_f32_e32 v4, v4
	v_mul_f32_e32 v4, 0x5f7ffffc, v4
	v_mul_f32_e32 v7, 0x2f800000, v4
	v_trunc_f32_e32 v7, v7
	v_mac_f32_e32 v4, 0xcf800000, v7
	v_cvt_u32_f32_e32 v7, v7
	v_cvt_u32_f32_e32 v4, v4
	v_mul_lo_u32 v8, s0, v7
	v_mul_hi_u32 v9, s0, v4
	v_mul_lo_u32 v11, s1, v4
	v_mul_lo_u32 v10, s0, v4
	v_add_u32_e32 v8, v9, v8
	v_add_u32_e32 v8, v8, v11
	v_mul_hi_u32 v9, v4, v10
	v_mul_lo_u32 v11, v4, v8
	v_mul_hi_u32 v13, v4, v8
	v_mul_hi_u32 v12, v7, v10
	v_mul_lo_u32 v10, v7, v10
	v_mul_hi_u32 v14, v7, v8
	v_add_co_u32_e32 v9, vcc, v9, v11
	v_addc_co_u32_e32 v11, vcc, 0, v13, vcc
	v_mul_lo_u32 v8, v7, v8
	v_add_co_u32_e32 v9, vcc, v9, v10
	v_addc_co_u32_e32 v9, vcc, v11, v12, vcc
	v_addc_co_u32_e32 v10, vcc, 0, v14, vcc
	v_add_co_u32_e32 v8, vcc, v9, v8
	v_addc_co_u32_e32 v9, vcc, 0, v10, vcc
	v_add_co_u32_e32 v4, vcc, v4, v8
	v_addc_co_u32_e32 v7, vcc, v7, v9, vcc
	v_mul_lo_u32 v8, s0, v7
	v_mul_hi_u32 v9, s0, v4
	v_mul_lo_u32 v10, s1, v4
	v_mul_lo_u32 v11, s0, v4
	v_add_u32_e32 v8, v9, v8
	v_add_u32_e32 v8, v8, v10
	v_mul_lo_u32 v12, v4, v8
	v_mul_hi_u32 v13, v4, v11
	v_mul_hi_u32 v14, v4, v8
	;; [unrolled: 1-line block ×3, first 2 shown]
	v_mul_lo_u32 v11, v7, v11
	v_mul_hi_u32 v9, v7, v8
	v_add_co_u32_e32 v12, vcc, v13, v12
	v_addc_co_u32_e32 v13, vcc, 0, v14, vcc
	v_mul_lo_u32 v8, v7, v8
	v_add_co_u32_e32 v11, vcc, v12, v11
	v_addc_co_u32_e32 v10, vcc, v13, v10, vcc
	v_addc_co_u32_e32 v9, vcc, 0, v9, vcc
	v_add_co_u32_e32 v8, vcc, v10, v8
	v_addc_co_u32_e32 v9, vcc, 0, v9, vcc
	v_add_co_u32_e32 v4, vcc, v4, v8
	v_addc_co_u32_e32 v9, vcc, v7, v9, vcc
	v_mad_u64_u32 v[7:8], s[0:1], v5, v9, 0
	v_mul_hi_u32 v10, v5, v4
	v_add_co_u32_e32 v11, vcc, v10, v7
	v_addc_co_u32_e32 v12, vcc, 0, v8, vcc
	v_mad_u64_u32 v[7:8], s[0:1], v6, v4, 0
	v_mad_u64_u32 v[9:10], s[0:1], v6, v9, 0
	v_add_co_u32_e32 v4, vcc, v11, v7
	v_addc_co_u32_e32 v4, vcc, v12, v8, vcc
	v_addc_co_u32_e32 v7, vcc, 0, v10, vcc
	v_add_co_u32_e32 v4, vcc, v4, v9
	v_addc_co_u32_e32 v9, vcc, 0, v7, vcc
	v_mul_lo_u32 v10, s19, v4
	v_mul_lo_u32 v11, s18, v9
	v_mad_u64_u32 v[7:8], s[0:1], s18, v4, 0
	v_add3_u32 v8, v8, v11, v10
	v_sub_u32_e32 v10, v6, v8
	v_mov_b32_e32 v11, s19
	v_sub_co_u32_e32 v7, vcc, v5, v7
	v_subb_co_u32_e64 v10, s[0:1], v10, v11, vcc
	v_subrev_co_u32_e64 v11, s[0:1], s18, v7
	v_subbrev_co_u32_e64 v10, s[0:1], 0, v10, s[0:1]
	v_cmp_le_u32_e64 s[0:1], s19, v10
	v_cndmask_b32_e64 v12, 0, -1, s[0:1]
	v_cmp_le_u32_e64 s[0:1], s18, v11
	v_cndmask_b32_e64 v11, 0, -1, s[0:1]
	v_cmp_eq_u32_e64 s[0:1], s19, v10
	v_cndmask_b32_e64 v10, v12, v11, s[0:1]
	v_add_co_u32_e64 v11, s[0:1], 2, v4
	v_addc_co_u32_e64 v12, s[0:1], 0, v9, s[0:1]
	v_add_co_u32_e64 v13, s[0:1], 1, v4
	v_addc_co_u32_e64 v14, s[0:1], 0, v9, s[0:1]
	v_subb_co_u32_e32 v8, vcc, v6, v8, vcc
	v_cmp_ne_u32_e64 s[0:1], 0, v10
	v_cmp_le_u32_e32 vcc, s19, v8
	v_cndmask_b32_e64 v10, v14, v12, s[0:1]
	v_cndmask_b32_e64 v12, 0, -1, vcc
	v_cmp_le_u32_e32 vcc, s18, v7
	v_cndmask_b32_e64 v7, 0, -1, vcc
	v_cmp_eq_u32_e32 vcc, s19, v8
	v_cndmask_b32_e32 v7, v12, v7, vcc
	v_cmp_ne_u32_e32 vcc, 0, v7
	v_cndmask_b32_e64 v7, v13, v11, s[0:1]
	v_cndmask_b32_e32 v8, v9, v10, vcc
	v_cndmask_b32_e32 v7, v4, v7, vcc
.LBB0_4:                                ;   in Loop: Header=BB0_2 Depth=1
	s_andn2_saveexec_b64 s[0:1], s[20:21]
	s_cbranch_execz .LBB0_6
; %bb.5:                                ;   in Loop: Header=BB0_2 Depth=1
	v_cvt_f32_u32_e32 v4, s18
	s_sub_i32 s20, 0, s18
	v_rcp_iflag_f32_e32 v4, v4
	v_mul_f32_e32 v4, 0x4f7ffffe, v4
	v_cvt_u32_f32_e32 v4, v4
	v_mul_lo_u32 v7, s20, v4
	v_mul_hi_u32 v7, v4, v7
	v_add_u32_e32 v4, v4, v7
	v_mul_hi_u32 v4, v5, v4
	v_mul_lo_u32 v7, v4, s18
	v_add_u32_e32 v8, 1, v4
	v_sub_u32_e32 v7, v5, v7
	v_subrev_u32_e32 v9, s18, v7
	v_cmp_le_u32_e32 vcc, s18, v7
	v_cndmask_b32_e32 v7, v7, v9, vcc
	v_cndmask_b32_e32 v4, v4, v8, vcc
	v_add_u32_e32 v8, 1, v4
	v_cmp_le_u32_e32 vcc, s18, v7
	v_cndmask_b32_e32 v7, v4, v8, vcc
	v_mov_b32_e32 v8, v3
.LBB0_6:                                ;   in Loop: Header=BB0_2 Depth=1
	s_or_b64 exec, exec, s[0:1]
	v_mul_lo_u32 v4, v8, s18
	v_mul_lo_u32 v11, v7, s19
	v_mad_u64_u32 v[9:10], s[0:1], v7, s18, 0
	s_load_dwordx2 s[0:1], s[6:7], 0x0
	s_add_u32 s16, s16, 1
	v_add3_u32 v4, v10, v11, v4
	v_sub_co_u32_e32 v5, vcc, v5, v9
	v_subb_co_u32_e32 v4, vcc, v6, v4, vcc
	s_waitcnt lgkmcnt(0)
	v_mul_lo_u32 v4, s0, v4
	v_mul_lo_u32 v6, s1, v5
	v_mad_u64_u32 v[1:2], s[0:1], s0, v5, v[1:2]
	s_addc_u32 s17, s17, 0
	s_add_u32 s6, s6, 8
	v_add3_u32 v2, v6, v2, v4
	v_mov_b32_e32 v4, s10
	v_mov_b32_e32 v5, s11
	s_addc_u32 s7, s7, 0
	v_cmp_ge_u64_e32 vcc, s[16:17], v[4:5]
	s_add_u32 s14, s14, 8
	s_addc_u32 s15, s15, 0
	s_cbranch_vccnz .LBB0_9
; %bb.7:                                ;   in Loop: Header=BB0_2 Depth=1
	v_mov_b32_e32 v5, v7
	v_mov_b32_e32 v6, v8
	s_branch .LBB0_2
.LBB0_8:
	v_mov_b32_e32 v8, v6
	v_mov_b32_e32 v7, v5
.LBB0_9:
	s_lshl_b64 s[0:1], s[10:11], 3
	s_add_u32 s0, s12, s0
	s_addc_u32 s1, s13, s1
	s_load_dwordx2 s[6:7], s[0:1], 0x0
	s_load_dwordx2 s[10:11], s[4:5], 0x20
	v_and_b32_e32 v32, 15, v0
	v_or_b32_e32 v5, 64, v32
                                        ; implicit-def: $vgpr6
	s_waitcnt lgkmcnt(0)
	v_mul_lo_u32 v3, s6, v8
	v_mul_lo_u32 v4, s7, v7
	v_mad_u64_u32 v[9:10], s[0:1], s6, v7, v[1:2]
	v_cmp_gt_u64_e32 vcc, s[10:11], v[7:8]
	v_cmp_le_u64_e64 s[0:1], s[10:11], v[7:8]
	v_add3_u32 v10, v4, v10, v3
	v_or_b32_e32 v2, 16, v32
	v_or_b32_e32 v4, 48, v32
	;; [unrolled: 1-line block ×3, first 2 shown]
	s_and_saveexec_b64 s[4:5], s[0:1]
	s_xor_b64 s[0:1], exec, s[4:5]
; %bb.10:
	v_or_b32_e32 v2, 16, v32
	v_or_b32_e32 v4, 48, v32
	;; [unrolled: 1-line block ×5, first 2 shown]
; %bb.11:
	s_or_saveexec_b64 s[4:5], s[0:1]
	v_lshlrev_b64 v[0:1], 3, v[9:10]
	v_lshlrev_b32_e32 v31, 3, v32
                                        ; implicit-def: $vgpr8
                                        ; implicit-def: $vgpr24
                                        ; implicit-def: $vgpr20
                                        ; implicit-def: $vgpr22
                                        ; implicit-def: $vgpr26
                                        ; implicit-def: $vgpr10
                                        ; implicit-def: $vgpr14
                                        ; implicit-def: $vgpr28
                                        ; implicit-def: $vgpr18
                                        ; implicit-def: $vgpr16
                                        ; implicit-def: $vgpr12
                                        ; implicit-def: $vgpr30
	s_xor_b64 exec, exec, s[4:5]
	s_cbranch_execz .LBB0_13
; %bb.12:
	v_mov_b32_e32 v6, s3
	v_add_co_u32_e64 v7, s[0:1], s2, v0
	v_addc_co_u32_e64 v6, s[0:1], v6, v1, s[0:1]
	v_add_co_u32_e64 v34, s[0:1], v7, v31
	v_addc_co_u32_e64 v35, s[0:1], 0, v6, s[0:1]
	global_load_dwordx2 v[7:8], v[34:35], off
	global_load_dwordx2 v[19:20], v[34:35], off offset:512
	global_load_dwordx2 v[21:22], v[34:35], off offset:1024
	;; [unrolled: 1-line block ×11, first 2 shown]
	v_or_b32_e32 v6, 0x50, v32
.LBB0_13:
	s_or_b64 exec, exec, s[4:5]
	s_waitcnt vmcnt(9)
	v_add_f32_e32 v35, v19, v21
	v_add_f32_e32 v34, v7, v19
	v_fmac_f32_e32 v7, -0.5, v35
	v_sub_f32_e32 v35, v20, v22
	v_mov_b32_e32 v37, v7
	s_waitcnt vmcnt(1)
	v_add_f32_e32 v36, v25, v29
	v_fmac_f32_e32 v37, 0xbf5db3d7, v35
	v_fmac_f32_e32 v7, 0x3f5db3d7, v35
	v_add_f32_e32 v35, v23, v29
	v_fmac_f32_e32 v23, -0.5, v36
	v_sub_f32_e32 v36, v30, v26
	v_add_f32_e32 v39, v24, v30
	v_add_f32_e32 v30, v26, v30
	v_fmac_f32_e32 v24, -0.5, v30
	v_mov_b32_e32 v38, v23
	v_sub_f32_e32 v29, v29, v25
	v_mov_b32_e32 v30, v24
	v_fmac_f32_e32 v38, 0xbf5db3d7, v36
	v_fmac_f32_e32 v23, 0x3f5db3d7, v36
	v_fmac_f32_e32 v30, 0x3f5db3d7, v29
	v_fmac_f32_e32 v24, 0xbf5db3d7, v29
	v_mul_u32_u24_e32 v29, 0xc0, v33
	v_add_f32_e32 v36, v34, v21
	v_add_f32_e32 v25, v25, v35
	v_mul_f32_e32 v40, 0xbf5db3d7, v30
	v_add_f32_e32 v33, v36, v25
	v_mul_f32_e32 v41, 0xbf5db3d7, v24
	v_sub_f32_e32 v36, v36, v25
	v_lshlrev_b32_e32 v25, 2, v29
	v_fmac_f32_e32 v40, 0.5, v38
	v_fmac_f32_e32 v41, -0.5, v23
	v_mul_u32_u24_e32 v42, 6, v32
	v_add_u32_e32 v29, 0, v25
	v_add_f32_e32 v34, v37, v40
	v_add_f32_e32 v35, v7, v41
	v_lshl_add_u32 v43, v42, 2, v29
	ds_write2_b64 v43, v[33:34], v[35:36] offset1:1
	v_sub_f32_e32 v33, v37, v40
	v_sub_f32_e32 v34, v7, v41
	ds_write_b64 v43, v[33:34] offset:16
	s_waitcnt vmcnt(0)
	v_add_f32_e32 v33, v13, v17
	v_add_f32_e32 v7, v9, v13
	v_fmac_f32_e32 v9, -0.5, v33
	v_sub_f32_e32 v33, v14, v18
	v_mov_b32_e32 v35, v9
	v_add_f32_e32 v34, v27, v15
	v_fmac_f32_e32 v35, 0xbf5db3d7, v33
	v_fmac_f32_e32 v9, 0x3f5db3d7, v33
	v_add_f32_e32 v33, v27, v11
	v_fmac_f32_e32 v11, -0.5, v34
	v_sub_f32_e32 v34, v28, v16
	v_add_f32_e32 v44, v28, v12
	v_add_f32_e32 v28, v28, v16
	v_fmac_f32_e32 v12, -0.5, v28
	v_sub_f32_e32 v27, v27, v15
	v_mov_b32_e32 v45, v12
	v_mov_b32_e32 v36, v11
	v_fmac_f32_e32 v45, 0x3f5db3d7, v27
	v_fmac_f32_e32 v12, 0xbf5db3d7, v27
	;; [unrolled: 1-line block ×4, first 2 shown]
	v_add_f32_e32 v7, v7, v17
	v_add_f32_e32 v15, v15, v33
	v_mul_f32_e32 v37, 0xbf5db3d7, v45
	v_mul_f32_e32 v40, 0xbf5db3d7, v12
	v_fmac_f32_e32 v37, 0.5, v36
	v_add_f32_e32 v27, v7, v15
	v_fmac_f32_e32 v40, -0.5, v11
	v_sub_f32_e32 v34, v7, v15
	v_mul_i32_i24_e32 v7, 6, v2
	v_add_f32_e32 v15, v20, v22
	v_add_f32_e32 v28, v35, v37
	;; [unrolled: 1-line block ×3, first 2 shown]
	v_lshl_add_u32 v46, v7, 2, v29
	v_add_f32_e32 v7, v8, v20
	v_fmac_f32_e32 v8, -0.5, v15
	ds_write2_b64 v46, v[27:28], v[33:34] offset1:1
	v_sub_f32_e32 v21, v19, v21
	v_mul_f32_e32 v28, -0.5, v24
	v_sub_f32_e32 v19, v35, v37
	v_mov_b32_e32 v35, v8
	v_mul_f32_e32 v47, 0x3f5db3d7, v38
	v_add_f32_e32 v7, v7, v22
	v_add_f32_e32 v22, v26, v39
	v_fmac_f32_e32 v28, 0x3f5db3d7, v23
	v_sub_f32_e32 v20, v9, v40
	v_fmac_f32_e32 v35, 0x3f5db3d7, v21
	v_fmac_f32_e32 v8, 0xbf5db3d7, v21
	v_fmac_f32_e32 v47, 0.5, v30
	v_lshlrev_b32_e32 v9, 2, v32
	v_add_f32_e32 v26, v7, v22
	v_sub_f32_e32 v34, v7, v22
	v_add_f32_e32 v33, v8, v28
	s_movk_i32 s0, 0xffec
	v_add_u32_e32 v15, v29, v9
	v_sub_f32_e32 v8, v8, v28
	v_sub_f32_e32 v7, v35, v47
	ds_write_b64 v46, v[19:20] offset:16
	s_waitcnt lgkmcnt(0)
	s_barrier
	v_lshl_add_u32 v19, v4, 2, v29
	v_mad_i32_i24 v20, v32, s0, v43
	v_mad_i32_i24 v21, v2, s0, v46
	v_lshl_add_u32 v22, v5, 2, v29
	v_lshl_add_u32 v23, v3, 2, v29
	;; [unrolled: 1-line block ×3, first 2 shown]
	ds_read_b32 v30, v15
	ds_read_b32 v48, v19
	;; [unrolled: 1-line block ×6, first 2 shown]
	ds_read2_b32 v[37:38], v20 offset0:96 offset1:112
	ds_read2_b32 v[39:40], v20 offset0:128 offset1:144
	;; [unrolled: 1-line block ×3, first 2 shown]
	s_waitcnt lgkmcnt(0)
	s_barrier
	ds_write_b64 v43, v[7:8] offset:16
	v_add_f32_e32 v8, v14, v18
	v_add_f32_e32 v7, v10, v14
	v_fmac_f32_e32 v10, -0.5, v8
	v_sub_f32_e32 v13, v13, v17
	v_add_f32_e32 v14, v7, v18
	v_mov_b32_e32 v18, v10
	v_mul_f32_e32 v17, -0.5, v12
	v_fmac_f32_e32 v18, 0x3f5db3d7, v13
	v_fmac_f32_e32 v10, 0xbf5db3d7, v13
	v_mul_f32_e32 v13, 0x3f5db3d7, v36
	v_add_f32_e32 v16, v16, v44
	v_fmac_f32_e32 v17, 0x3f5db3d7, v11
	v_fmac_f32_e32 v13, 0.5, v45
	v_add_f32_e32 v27, v35, v47
	v_add_f32_e32 v7, v14, v16
	v_add_f32_e32 v8, v18, v13
	v_sub_f32_e32 v12, v14, v16
	v_add_f32_e32 v11, v10, v17
	ds_write2_b64 v43, v[26:27], v[33:34] offset1:1
	ds_write2_b64 v46, v[7:8], v[11:12] offset1:1
	v_sub_f32_e32 v8, v10, v17
	v_sub_f32_e32 v7, v18, v13
	ds_write_b64 v46, v[7:8] offset:16
	v_mul_lo_u16_e32 v14, 43, v32
	v_mov_b32_e32 v7, 6
	v_mul_lo_u16_sdwa v7, v14, v7 dst_sel:DWORD dst_unused:UNUSED_PAD src0_sel:BYTE_1 src1_sel:DWORD
	v_sub_u16_e32 v18, v32, v7
	v_mul_lo_u16_e32 v7, 3, v18
	v_mov_b32_e32 v28, 3
	s_movk_i32 s0, 0xab
	v_lshlrev_b32_sdwa v16, v28, v7 dst_sel:DWORD dst_unused:UNUSED_PAD src0_sel:DWORD src1_sel:BYTE_0
	v_mul_lo_u16_sdwa v7, v2, s0 dst_sel:DWORD dst_unused:UNUSED_PAD src0_sel:BYTE_0 src1_sel:DWORD
	v_lshrrev_b16_e32 v43, 10, v7
	v_mul_lo_u16_e32 v7, 6, v43
	s_waitcnt lgkmcnt(0)
	s_barrier
	global_load_dwordx4 v[10:13], v16, s[8:9]
	v_sub_u16_e32 v44, v2, v7
	v_mul_lo_u16_e32 v7, 3, v44
	v_lshlrev_b32_sdwa v26, v28, v7 dst_sel:DWORD dst_unused:UNUSED_PAD src0_sel:DWORD src1_sel:BYTE_0
	global_load_dwordx4 v[33:36], v26, s[8:9]
	ds_read_b32 v27, v19
	ds_read2_b32 v[7:8], v20 offset0:96 offset1:112
	global_load_dwordx2 v[16:17], v16, s[8:9] offset:16
	ds_read_b32 v45, v23
	ds_read_b32 v46, v21
	;; [unrolled: 1-line block ×3, first 2 shown]
	s_waitcnt vmcnt(2) lgkmcnt(4)
	v_mul_f32_e32 v53, v27, v11
	v_mul_f32_e32 v11, v48, v11
	v_fmac_f32_e32 v53, v48, v10
	v_fma_f32 v48, v27, v10, -v11
	s_waitcnt lgkmcnt(3)
	v_mul_f32_e32 v54, v7, v13
	v_mul_f32_e32 v10, v37, v13
	v_fmac_f32_e32 v54, v37, v12
	v_fma_f32 v37, v7, v12, -v10
	v_mul_lo_u16_sdwa v10, v3, s0 dst_sel:DWORD dst_unused:UNUSED_PAD src0_sel:BYTE_0 src1_sel:DWORD
	s_waitcnt vmcnt(1)
	v_mul_f32_e32 v55, v8, v36
	v_mul_f32_e32 v7, v38, v36
	v_lshrrev_b16_e32 v36, 10, v10
	v_mul_lo_u16_e32 v10, 6, v36
	v_fmac_f32_e32 v55, v38, v35
	v_sub_u16_e32 v38, v3, v10
	v_mul_lo_u16_e32 v10, 3, v38
	v_lshlrev_b32_sdwa v28, v28, v10 dst_sel:DWORD dst_unused:UNUSED_PAD src0_sel:DWORD src1_sel:BYTE_0
	global_load_dwordx2 v[26:27], v26, s[8:9] offset:16
	v_fma_f32 v35, v8, v35, -v7
	global_load_dwordx4 v[10:13], v28, s[8:9]
	ds_read_b32 v7, v22
	v_mul_f32_e32 v8, v50, v34
	v_cmp_gt_u32_e64 s[0:1], 24, v2
	s_waitcnt lgkmcnt(0)
	v_mul_f32_e32 v56, v7, v34
	v_fmac_f32_e32 v56, v50, v33
	v_fma_f32 v50, v7, v33, -v8
	global_load_dwordx2 v[7:8], v28, s[8:9] offset:16
	ds_read_b32 v28, v24
	ds_read2_b32 v[33:34], v20 offset0:128 offset1:144
	s_waitcnt vmcnt(1) lgkmcnt(1)
	v_mul_f32_e32 v57, v28, v11
	v_mul_f32_e32 v11, v52, v11
	v_fmac_f32_e32 v57, v52, v10
	v_fma_f32 v28, v28, v10, -v11
	s_waitcnt lgkmcnt(0)
	v_mul_f32_e32 v52, v33, v13
	v_mul_f32_e32 v10, v39, v13
	v_fmac_f32_e32 v52, v39, v12
	v_fma_f32 v12, v33, v12, -v10
	ds_read2_b32 v[10:11], v20 offset0:160 offset1:176
	v_mul_f32_e32 v13, v34, v17
	v_mul_f32_e32 v17, v40, v17
	v_fmac_f32_e32 v13, v40, v16
	v_fma_f32 v16, v34, v16, -v17
	s_waitcnt lgkmcnt(0)
	v_mul_f32_e32 v17, v10, v27
	v_mul_f32_e32 v27, v41, v27
	v_fmac_f32_e32 v17, v41, v26
	v_fma_f32 v10, v10, v26, -v27
	s_waitcnt vmcnt(0)
	v_mul_f32_e32 v26, v11, v8
	v_mul_f32_e32 v8, v42, v8
	v_fmac_f32_e32 v26, v42, v7
	v_fma_f32 v7, v11, v7, -v8
	v_mov_b32_e32 v8, 24
	v_mul_lo_u16_sdwa v8, v14, v8 dst_sel:DWORD dst_unused:UNUSED_PAD src0_sel:BYTE_1 src1_sel:DWORD
	v_sub_f32_e32 v11, v30, v54
	v_sub_f32_e32 v13, v53, v13
	v_or_b32_e32 v8, v8, v18
	v_fma_f32 v14, v30, 2.0, -v11
	v_sub_f32_e32 v16, v48, v16
	v_fma_f32 v18, v53, 2.0, -v13
	v_sub_f32_e32 v18, v14, v18
	v_add_f32_e32 v27, v11, v16
	v_and_b32_e32 v8, 0xff, v8
	v_fma_f32 v14, v14, 2.0, -v18
	v_fma_f32 v11, v11, 2.0, -v27
	v_lshl_add_u32 v8, v8, 2, v29
	s_barrier
	ds_write2_b32 v8, v14, v11 offset1:6
	ds_write2_b32 v8, v18, v27 offset0:12 offset1:18
	v_mul_lo_u16_e32 v11, 24, v43
	v_sub_f32_e32 v14, v49, v55
	v_sub_f32_e32 v30, v56, v17
	v_or_b32_e32 v11, v11, v44
	v_fma_f32 v18, v49, 2.0, -v14
	v_sub_f32_e32 v10, v50, v10
	v_fma_f32 v17, v56, 2.0, -v30
	v_sub_f32_e32 v17, v18, v17
	v_add_f32_e32 v27, v14, v10
	v_and_b32_e32 v11, 0xff, v11
	v_fma_f32 v18, v18, 2.0, -v17
	v_fma_f32 v14, v14, 2.0, -v27
	v_lshl_add_u32 v11, v11, 2, v29
	ds_write2_b32 v11, v18, v14 offset1:6
	ds_write2_b32 v11, v17, v27 offset0:12 offset1:18
	v_mul_lo_u16_e32 v14, 24, v36
	v_sub_f32_e32 v17, v51, v52
	v_sub_f32_e32 v33, v57, v26
	v_or_b32_e32 v14, v14, v38
	v_fma_f32 v18, v51, 2.0, -v17
	v_sub_f32_e32 v7, v28, v7
	v_fma_f32 v26, v57, 2.0, -v33
	v_sub_f32_e32 v26, v18, v26
	v_add_f32_e32 v27, v17, v7
	v_and_b32_e32 v14, 0xff, v14
	v_fma_f32 v18, v18, 2.0, -v26
	v_fma_f32 v17, v17, 2.0, -v27
	v_lshl_add_u32 v14, v14, 2, v29
	ds_write2_b32 v14, v18, v17 offset1:6
	ds_write2_b32 v14, v26, v27 offset0:12 offset1:18
	v_sub_f32_e32 v17, v47, v37
	v_fma_f32 v16, v48, 2.0, -v16
	v_fma_f32 v18, v47, 2.0, -v17
	v_sub_f32_e32 v34, v18, v16
	v_sub_f32_e32 v13, v17, v13
	v_fma_f32 v18, v18, 2.0, -v34
	v_fma_f32 v36, v17, 2.0, -v13
	s_waitcnt lgkmcnt(0)
	s_barrier
	ds_read_b32 v48, v15
	ds_read_b32 v49, v19
	;; [unrolled: 1-line block ×6, first 2 shown]
	ds_read2_b32 v[16:17], v20 offset0:96 offset1:112
	ds_read2_b32 v[26:27], v20 offset0:128 offset1:144
	;; [unrolled: 1-line block ×3, first 2 shown]
	s_waitcnt lgkmcnt(0)
	s_barrier
	ds_write2_b32 v8, v18, v36 offset1:6
	ds_write2_b32 v8, v34, v13 offset0:12 offset1:18
	v_fma_f32 v8, v50, 2.0, -v10
	v_sub_f32_e32 v10, v46, v35
	v_fma_f32 v13, v46, 2.0, -v10
	v_sub_f32_e32 v8, v13, v8
	v_sub_f32_e32 v18, v10, v30
	v_fma_f32 v13, v13, 2.0, -v8
	v_fma_f32 v10, v10, 2.0, -v18
	ds_write2_b32 v11, v13, v10 offset1:6
	ds_write2_b32 v11, v8, v18 offset0:12 offset1:18
	v_sub_f32_e32 v8, v45, v12
	v_fma_f32 v7, v28, 2.0, -v7
	v_fma_f32 v10, v45, 2.0, -v8
	v_sub_f32_e32 v7, v10, v7
	v_sub_f32_e32 v11, v8, v33
	v_fma_f32 v10, v10, 2.0, -v7
	v_fma_f32 v8, v8, 2.0, -v11
	ds_write2_b32 v14, v10, v8 offset1:6
	ds_write2_b32 v14, v7, v11 offset0:12 offset1:18
	v_mul_u32_u24_e32 v7, 3, v32
	v_lshlrev_b32_e32 v14, 3, v7
	s_waitcnt lgkmcnt(0)
	s_barrier
	global_load_dwordx4 v[10:13], v14, s[8:9] offset:144
	v_add_u32_e32 v7, -8, v32
	v_cndmask_b32_e64 v18, v7, v2, s[0:1]
	v_mul_i32_i24_e32 v7, 3, v18
	v_mov_b32_e32 v8, 0
	v_lshlrev_b64 v[32:33], 3, v[7:8]
	v_mov_b32_e32 v28, s9
	v_add_co_u32_e64 v42, s[0:1], s8, v32
	v_addc_co_u32_e64 v43, s[0:1], v28, v33, s[0:1]
	global_load_dwordx4 v[32:35], v[42:43], off offset:144
	global_load_dwordx4 v[36:39], v14, s[8:9] offset:336
	ds_read_b32 v7, v19
	ds_read2_b32 v[44:45], v20 offset0:96 offset1:112
	global_load_dwordx2 v[46:47], v14, s[8:9] offset:160
	ds_read_b32 v28, v23
	ds_read_b32 v30, v21
	;; [unrolled: 1-line block ×3, first 2 shown]
	v_cmp_lt_u32_e64 s[0:1], 23, v2
	s_waitcnt vmcnt(3) lgkmcnt(4)
	v_mul_f32_e32 v55, v7, v11
	v_mul_f32_e32 v11, v49, v11
	v_fmac_f32_e32 v55, v49, v10
	v_fma_f32 v7, v7, v10, -v11
	s_waitcnt lgkmcnt(3)
	v_mul_f32_e32 v49, v44, v13
	global_load_dwordx2 v[10:11], v[42:43], off offset:160
	v_mul_f32_e32 v13, v16, v13
	v_fmac_f32_e32 v49, v16, v12
	v_fma_f32 v42, v44, v12, -v13
	global_load_dwordx2 v[12:13], v14, s[8:9] offset:352
	ds_read_b32 v14, v22
	ds_read_b32 v43, v24
	s_waitcnt vmcnt(4)
	v_mul_f32_e32 v44, v45, v35
	v_mul_f32_e32 v16, v17, v35
	v_fmac_f32_e32 v44, v17, v34
	v_fma_f32 v34, v45, v34, -v16
	v_mul_f32_e32 v16, v52, v33
	s_waitcnt lgkmcnt(1)
	v_fma_f32 v45, v14, v32, -v16
	ds_read2_b32 v[16:17], v20 offset0:128 offset1:144
	v_mul_f32_e32 v35, v14, v33
	v_fmac_f32_e32 v35, v52, v32
	s_waitcnt vmcnt(3) lgkmcnt(1)
	v_mul_f32_e32 v14, v43, v37
	v_mul_f32_e32 v32, v54, v37
	v_fmac_f32_e32 v14, v54, v36
	v_fma_f32 v36, v43, v36, -v32
	ds_read2_b32 v[32:33], v20 offset0:160 offset1:176
	s_waitcnt lgkmcnt(1)
	v_mul_f32_e32 v37, v16, v39
	v_fmac_f32_e32 v37, v26, v38
	v_mul_f32_e32 v26, v26, v39
	v_fma_f32 v38, v16, v38, -v26
	s_waitcnt vmcnt(2)
	v_mul_f32_e32 v26, v27, v47
	v_mul_f32_e32 v16, v17, v47
	v_fma_f32 v17, v17, v46, -v26
	v_fmac_f32_e32 v16, v27, v46
	v_sub_f32_e32 v16, v55, v16
	v_sub_f32_e32 v17, v7, v17
	s_waitcnt vmcnt(0) lgkmcnt(0)
	s_barrier
	v_fma_f32 v7, v7, 2.0, -v17
	v_mul_f32_e32 v26, v32, v11
	v_mul_f32_e32 v11, v40, v11
	v_fmac_f32_e32 v26, v40, v10
	v_fma_f32 v10, v32, v10, -v11
	v_mul_f32_e32 v11, v33, v13
	v_mul_f32_e32 v13, v41, v13
	v_fmac_f32_e32 v11, v41, v12
	v_fma_f32 v12, v33, v12, -v13
	v_sub_f32_e32 v13, v48, v49
	v_fma_f32 v27, v48, 2.0, -v13
	v_fma_f32 v32, v55, 2.0, -v16
	v_sub_f32_e32 v32, v27, v32
	v_add_f32_e32 v33, v13, v17
	v_fma_f32 v27, v27, 2.0, -v32
	v_fma_f32 v13, v13, 2.0, -v33
	ds_write2_b32 v20, v27, v13 offset1:24
	ds_write2_b32 v20, v32, v33 offset0:48 offset1:72
	v_mov_b32_e32 v13, 0x60
	v_cndmask_b32_e64 v13, 0, v13, s[0:1]
	v_or_b32_e32 v13, v13, v18
	v_lshl_add_u32 v29, v13, 2, v29
	v_sub_f32_e32 v13, v51, v44
	v_sub_f32_e32 v32, v35, v26
	v_fma_f32 v18, v51, 2.0, -v13
	v_sub_f32_e32 v33, v45, v10
	v_fma_f32 v10, v35, 2.0, -v32
	v_sub_f32_e32 v10, v18, v10
	v_add_f32_e32 v26, v13, v33
	v_fma_f32 v18, v18, 2.0, -v10
	v_fma_f32 v13, v13, 2.0, -v26
	ds_write2_b32 v29, v18, v13 offset1:24
	ds_write2_b32 v29, v10, v26 offset0:48 offset1:72
	v_sub_f32_e32 v10, v53, v37
	v_sub_f32_e32 v35, v14, v11
	v_fma_f32 v13, v53, 2.0, -v10
	v_fma_f32 v11, v14, 2.0, -v35
	v_sub_f32_e32 v11, v13, v11
	v_sub_f32_e32 v39, v36, v12
	v_fma_f32 v13, v13, 2.0, -v11
	v_add3_u32 v37, 0, v9, v25
	v_add_f32_e32 v9, v10, v39
	ds_write_b32 v20, v13 offset:416
	v_fma_f32 v10, v10, 2.0, -v9
	ds_write_b32 v37, v9 offset:704
	v_sub_f32_e32 v9, v50, v42
	ds_write2_b32 v37, v10, v11 offset0:128 offset1:152
	v_fma_f32 v10, v50, 2.0, -v9
	v_sub_f32_e32 v7, v10, v7
	v_sub_f32_e32 v41, v9, v16
	v_fma_f32 v40, v10, 2.0, -v7
	v_fma_f32 v42, v9, 2.0, -v41
	s_waitcnt lgkmcnt(0)
	s_barrier
	ds_read_b32 v16, v15
	ds_read_b32 v27, v24
	;; [unrolled: 1-line block ×6, first 2 shown]
	ds_read2_b32 v[9:10], v20 offset0:96 offset1:112
	ds_read2_b32 v[11:12], v20 offset0:128 offset1:144
	;; [unrolled: 1-line block ×3, first 2 shown]
	s_waitcnt lgkmcnt(0)
	s_barrier
	ds_write2_b32 v20, v40, v42 offset1:24
	ds_write2_b32 v20, v7, v41 offset0:48 offset1:72
	v_fma_f32 v7, v45, 2.0, -v33
	v_sub_f32_e32 v33, v30, v34
	v_fma_f32 v30, v30, 2.0, -v33
	v_sub_f32_e32 v7, v30, v7
	v_sub_f32_e32 v32, v33, v32
	v_fma_f32 v30, v30, 2.0, -v7
	v_fma_f32 v33, v33, 2.0, -v32
	ds_write2_b32 v29, v30, v33 offset1:24
	ds_write2_b32 v29, v7, v32 offset0:48 offset1:72
	v_sub_f32_e32 v29, v28, v38
	v_fma_f32 v7, v36, 2.0, -v39
	v_fma_f32 v28, v28, 2.0, -v29
	v_sub_f32_e32 v7, v28, v7
	v_fma_f32 v28, v28, 2.0, -v7
	ds_write_b32 v20, v28 offset:416
	v_sub_f32_e32 v28, v29, v35
	v_fma_f32 v29, v29, 2.0, -v28
	ds_write2_b32 v37, v29, v7 offset0:128 offset1:152
	ds_write_b32 v37, v28 offset:704
	s_waitcnt lgkmcnt(0)
	s_barrier
	s_and_saveexec_b64 s[0:1], vcc
	s_cbranch_execz .LBB0_15
; %bb.14:
	v_mov_b32_e32 v7, v8
	v_lshlrev_b64 v[6:7], 3, v[6:7]
	v_mov_b32_e32 v30, s9
	v_add_co_u32_e32 v28, vcc, s8, v6
	v_mov_b32_e32 v6, v8
	v_lshlrev_b64 v[5:6], 3, v[5:6]
	v_addc_co_u32_e32 v29, vcc, v30, v7, vcc
	v_add_co_u32_e32 v32, vcc, s8, v5
	v_mov_b32_e32 v5, v8
	v_lshlrev_b64 v[4:5], 3, v[4:5]
	v_addc_co_u32_e32 v33, vcc, v30, v6, vcc
	;; [unrolled: 4-line block ×3, first 2 shown]
	v_add_co_u32_e32 v3, vcc, s8, v3
	v_addc_co_u32_e32 v4, vcc, v30, v4, vcc
	global_load_dwordx2 v[34:35], v[28:29], off offset:720
	global_load_dwordx2 v[36:37], v[32:33], off offset:720
	;; [unrolled: 1-line block ×4, first 2 shown]
	v_mov_b32_e32 v3, v8
	v_lshlrev_b64 v[2:3], 3, v[2:3]
	v_add_co_u32_e32 v2, vcc, s8, v2
	v_addc_co_u32_e32 v3, vcc, v30, v3, vcc
	global_load_dwordx2 v[4:5], v[2:3], off offset:720
	global_load_dwordx2 v[6:7], v31, s[8:9] offset:720
	ds_read2_b32 v[2:3], v20 offset0:160 offset1:176
	ds_read2_b32 v[28:29], v20 offset0:128 offset1:144
	ds_read_b32 v8, v24
	ds_read_b32 v30, v23
	ds_read_b32 v23, v22
	ds_read_b32 v32, v21
	ds_read2_b32 v[20:21], v20 offset0:96 offset1:112
	ds_read_b32 v19, v19
	ds_read_b32 v33, v15
	v_add_co_u32_e32 v0, vcc, s2, v0
	s_waitcnt vmcnt(5)
	v_mul_f32_e32 v15, v14, v35
	s_waitcnt lgkmcnt(8)
	v_mul_f32_e32 v22, v3, v35
	s_waitcnt vmcnt(4)
	v_mul_f32_e32 v24, v13, v37
	v_mul_f32_e32 v35, v2, v37
	s_waitcnt vmcnt(3)
	v_mul_f32_e32 v37, v12, v39
	s_waitcnt lgkmcnt(7)
	v_mul_f32_e32 v39, v29, v39
	v_fma_f32 v3, v3, v34, -v15
	v_fmac_f32_e32 v35, v13, v36
	v_fma_f32 v13, v29, v38, -v37
	s_waitcnt vmcnt(2)
	v_mul_f32_e32 v42, v11, v41
	s_waitcnt vmcnt(1)
	v_mul_f32_e32 v43, v10, v5
	s_waitcnt lgkmcnt(2)
	v_mul_f32_e32 v44, v21, v5
	s_waitcnt vmcnt(0)
	v_mul_f32_e32 v5, v9, v7
	v_mul_f32_e32 v7, v20, v7
	v_fma_f32 v29, v20, v6, -v5
	v_fmac_f32_e32 v7, v9, v6
	v_mov_b32_e32 v6, s3
	v_mul_f32_e32 v41, v28, v41
	v_fmac_f32_e32 v22, v14, v34
	v_fma_f32 v14, v2, v36, -v24
	v_fmac_f32_e32 v44, v10, v4
	v_sub_f32_e32 v3, v8, v3
	v_addc_co_u32_e32 v1, vcc, v6, v1, vcc
	v_fmac_f32_e32 v39, v12, v38
	v_fma_f32 v12, v28, v40, -v42
	v_fmac_f32_e32 v41, v11, v40
	v_fma_f32 v15, v21, v4, -v43
	v_sub_f32_e32 v2, v27, v22
	v_sub_f32_e32 v5, v23, v14
	;; [unrolled: 1-line block ×3, first 2 shown]
	v_fma_f32 v22, v8, 2.0, -v3
	s_waitcnt lgkmcnt(0)
	v_sub_f32_e32 v8, v33, v29
	v_sub_f32_e32 v7, v16, v7
	v_add_co_u32_e32 v0, vcc, v0, v31
	v_sub_f32_e32 v4, v26, v35
	v_sub_f32_e32 v11, v19, v13
	;; [unrolled: 1-line block ×6, first 2 shown]
	v_fma_f32 v21, v27, 2.0, -v2
	v_fma_f32 v27, v17, 2.0, -v14
	;; [unrolled: 1-line block ×4, first 2 shown]
	v_addc_co_u32_e32 v1, vcc, 0, v1, vcc
	v_fma_f32 v24, v23, 2.0, -v5
	v_fma_f32 v23, v26, 2.0, -v4
	;; [unrolled: 1-line block ×7, first 2 shown]
	global_store_dwordx2 v[0:1], v[16:17], off
	global_store_dwordx2 v[0:1], v[7:8], off offset:768
	global_store_dwordx2 v[0:1], v[27:28], off offset:128
	;; [unrolled: 1-line block ×11, first 2 shown]
.LBB0_15:
	s_endpgm
	.section	.rodata,"a",@progbits
	.p2align	6, 0x0
	.amdhsa_kernel fft_rtc_back_len192_factors_6_4_4_2_wgs_128_tpt_16_halfLds_sp_ip_CI_unitstride_sbrr_dirReg
		.amdhsa_group_segment_fixed_size 0
		.amdhsa_private_segment_fixed_size 0
		.amdhsa_kernarg_size 88
		.amdhsa_user_sgpr_count 6
		.amdhsa_user_sgpr_private_segment_buffer 1
		.amdhsa_user_sgpr_dispatch_ptr 0
		.amdhsa_user_sgpr_queue_ptr 0
		.amdhsa_user_sgpr_kernarg_segment_ptr 1
		.amdhsa_user_sgpr_dispatch_id 0
		.amdhsa_user_sgpr_flat_scratch_init 0
		.amdhsa_user_sgpr_private_segment_size 0
		.amdhsa_uses_dynamic_stack 0
		.amdhsa_system_sgpr_private_segment_wavefront_offset 0
		.amdhsa_system_sgpr_workgroup_id_x 1
		.amdhsa_system_sgpr_workgroup_id_y 0
		.amdhsa_system_sgpr_workgroup_id_z 0
		.amdhsa_system_sgpr_workgroup_info 0
		.amdhsa_system_vgpr_workitem_id 0
		.amdhsa_next_free_vgpr 58
		.amdhsa_next_free_sgpr 22
		.amdhsa_reserve_vcc 1
		.amdhsa_reserve_flat_scratch 0
		.amdhsa_float_round_mode_32 0
		.amdhsa_float_round_mode_16_64 0
		.amdhsa_float_denorm_mode_32 3
		.amdhsa_float_denorm_mode_16_64 3
		.amdhsa_dx10_clamp 1
		.amdhsa_ieee_mode 1
		.amdhsa_fp16_overflow 0
		.amdhsa_exception_fp_ieee_invalid_op 0
		.amdhsa_exception_fp_denorm_src 0
		.amdhsa_exception_fp_ieee_div_zero 0
		.amdhsa_exception_fp_ieee_overflow 0
		.amdhsa_exception_fp_ieee_underflow 0
		.amdhsa_exception_fp_ieee_inexact 0
		.amdhsa_exception_int_div_zero 0
	.end_amdhsa_kernel
	.text
.Lfunc_end0:
	.size	fft_rtc_back_len192_factors_6_4_4_2_wgs_128_tpt_16_halfLds_sp_ip_CI_unitstride_sbrr_dirReg, .Lfunc_end0-fft_rtc_back_len192_factors_6_4_4_2_wgs_128_tpt_16_halfLds_sp_ip_CI_unitstride_sbrr_dirReg
                                        ; -- End function
	.section	.AMDGPU.csdata,"",@progbits
; Kernel info:
; codeLenInByte = 4684
; NumSgprs: 26
; NumVgprs: 58
; ScratchSize: 0
; MemoryBound: 0
; FloatMode: 240
; IeeeMode: 1
; LDSByteSize: 0 bytes/workgroup (compile time only)
; SGPRBlocks: 3
; VGPRBlocks: 14
; NumSGPRsForWavesPerEU: 26
; NumVGPRsForWavesPerEU: 58
; Occupancy: 4
; WaveLimiterHint : 1
; COMPUTE_PGM_RSRC2:SCRATCH_EN: 0
; COMPUTE_PGM_RSRC2:USER_SGPR: 6
; COMPUTE_PGM_RSRC2:TRAP_HANDLER: 0
; COMPUTE_PGM_RSRC2:TGID_X_EN: 1
; COMPUTE_PGM_RSRC2:TGID_Y_EN: 0
; COMPUTE_PGM_RSRC2:TGID_Z_EN: 0
; COMPUTE_PGM_RSRC2:TIDIG_COMP_CNT: 0
	.type	__hip_cuid_518e51bb5fb8e711,@object ; @__hip_cuid_518e51bb5fb8e711
	.section	.bss,"aw",@nobits
	.globl	__hip_cuid_518e51bb5fb8e711
__hip_cuid_518e51bb5fb8e711:
	.byte	0                               ; 0x0
	.size	__hip_cuid_518e51bb5fb8e711, 1

	.ident	"AMD clang version 19.0.0git (https://github.com/RadeonOpenCompute/llvm-project roc-6.4.0 25133 c7fe45cf4b819c5991fe208aaa96edf142730f1d)"
	.section	".note.GNU-stack","",@progbits
	.addrsig
	.addrsig_sym __hip_cuid_518e51bb5fb8e711
	.amdgpu_metadata
---
amdhsa.kernels:
  - .args:
      - .actual_access:  read_only
        .address_space:  global
        .offset:         0
        .size:           8
        .value_kind:     global_buffer
      - .offset:         8
        .size:           8
        .value_kind:     by_value
      - .actual_access:  read_only
        .address_space:  global
        .offset:         16
        .size:           8
        .value_kind:     global_buffer
      - .actual_access:  read_only
        .address_space:  global
        .offset:         24
        .size:           8
        .value_kind:     global_buffer
      - .offset:         32
        .size:           8
        .value_kind:     by_value
      - .actual_access:  read_only
        .address_space:  global
        .offset:         40
        .size:           8
        .value_kind:     global_buffer
      - .actual_access:  read_only
        .address_space:  global
        .offset:         48
        .size:           8
        .value_kind:     global_buffer
      - .offset:         56
        .size:           4
        .value_kind:     by_value
      - .actual_access:  read_only
        .address_space:  global
        .offset:         64
        .size:           8
        .value_kind:     global_buffer
      - .actual_access:  read_only
        .address_space:  global
        .offset:         72
        .size:           8
        .value_kind:     global_buffer
      - .address_space:  global
        .offset:         80
        .size:           8
        .value_kind:     global_buffer
    .group_segment_fixed_size: 0
    .kernarg_segment_align: 8
    .kernarg_segment_size: 88
    .language:       OpenCL C
    .language_version:
      - 2
      - 0
    .max_flat_workgroup_size: 128
    .name:           fft_rtc_back_len192_factors_6_4_4_2_wgs_128_tpt_16_halfLds_sp_ip_CI_unitstride_sbrr_dirReg
    .private_segment_fixed_size: 0
    .sgpr_count:     26
    .sgpr_spill_count: 0
    .symbol:         fft_rtc_back_len192_factors_6_4_4_2_wgs_128_tpt_16_halfLds_sp_ip_CI_unitstride_sbrr_dirReg.kd
    .uniform_work_group_size: 1
    .uses_dynamic_stack: false
    .vgpr_count:     58
    .vgpr_spill_count: 0
    .wavefront_size: 64
amdhsa.target:   amdgcn-amd-amdhsa--gfx906
amdhsa.version:
  - 1
  - 2
...

	.end_amdgpu_metadata
